;; amdgpu-corpus repo=ROCm/rocFFT kind=compiled arch=gfx906 opt=O3
	.text
	.amdgcn_target "amdgcn-amd-amdhsa--gfx906"
	.amdhsa_code_object_version 6
	.protected	fft_rtc_fwd_len1768_factors_17_13_8_wgs_136_tpt_136_halfLds_sp_ip_CI_unitstride_sbrr_dirReg ; -- Begin function fft_rtc_fwd_len1768_factors_17_13_8_wgs_136_tpt_136_halfLds_sp_ip_CI_unitstride_sbrr_dirReg
	.globl	fft_rtc_fwd_len1768_factors_17_13_8_wgs_136_tpt_136_halfLds_sp_ip_CI_unitstride_sbrr_dirReg
	.p2align	8
	.type	fft_rtc_fwd_len1768_factors_17_13_8_wgs_136_tpt_136_halfLds_sp_ip_CI_unitstride_sbrr_dirReg,@function
fft_rtc_fwd_len1768_factors_17_13_8_wgs_136_tpt_136_halfLds_sp_ip_CI_unitstride_sbrr_dirReg: ; @fft_rtc_fwd_len1768_factors_17_13_8_wgs_136_tpt_136_halfLds_sp_ip_CI_unitstride_sbrr_dirReg
; %bb.0:
	s_load_dwordx2 s[12:13], s[4:5], 0x50
	s_load_dwordx4 s[8:11], s[4:5], 0x0
	s_load_dwordx2 s[2:3], s[4:5], 0x18
	v_mul_u32_u24_e32 v1, 0x1e2, v0
	v_add_u32_sdwa v5, s6, v1 dst_sel:DWORD dst_unused:UNUSED_PAD src0_sel:DWORD src1_sel:WORD_1
	v_mov_b32_e32 v3, 0
	s_waitcnt lgkmcnt(0)
	v_cmp_lt_u64_e64 s[0:1], s[10:11], 2
	v_mov_b32_e32 v1, 0
	v_mov_b32_e32 v6, v3
	s_and_b64 vcc, exec, s[0:1]
	v_mov_b32_e32 v2, 0
	s_cbranch_vccnz .LBB0_8
; %bb.1:
	s_load_dwordx2 s[0:1], s[4:5], 0x10
	s_add_u32 s6, s2, 8
	s_addc_u32 s7, s3, 0
	v_mov_b32_e32 v1, 0
	v_mov_b32_e32 v2, 0
	s_waitcnt lgkmcnt(0)
	s_add_u32 s14, s0, 8
	s_addc_u32 s15, s1, 0
	s_mov_b64 s[16:17], 1
.LBB0_2:                                ; =>This Inner Loop Header: Depth=1
	s_load_dwordx2 s[18:19], s[14:15], 0x0
                                        ; implicit-def: $vgpr7_vgpr8
	s_waitcnt lgkmcnt(0)
	v_or_b32_e32 v4, s19, v6
	v_cmp_ne_u64_e32 vcc, 0, v[3:4]
	s_and_saveexec_b64 s[0:1], vcc
	s_xor_b64 s[20:21], exec, s[0:1]
	s_cbranch_execz .LBB0_4
; %bb.3:                                ;   in Loop: Header=BB0_2 Depth=1
	v_cvt_f32_u32_e32 v4, s18
	v_cvt_f32_u32_e32 v7, s19
	s_sub_u32 s0, 0, s18
	s_subb_u32 s1, 0, s19
	v_mac_f32_e32 v4, 0x4f800000, v7
	v_rcp_f32_e32 v4, v4
	v_mul_f32_e32 v4, 0x5f7ffffc, v4
	v_mul_f32_e32 v7, 0x2f800000, v4
	v_trunc_f32_e32 v7, v7
	v_mac_f32_e32 v4, 0xcf800000, v7
	v_cvt_u32_f32_e32 v7, v7
	v_cvt_u32_f32_e32 v4, v4
	v_mul_lo_u32 v8, s0, v7
	v_mul_hi_u32 v9, s0, v4
	v_mul_lo_u32 v11, s1, v4
	v_mul_lo_u32 v10, s0, v4
	v_add_u32_e32 v8, v9, v8
	v_add_u32_e32 v8, v8, v11
	v_mul_hi_u32 v9, v4, v10
	v_mul_lo_u32 v11, v4, v8
	v_mul_hi_u32 v13, v4, v8
	v_mul_hi_u32 v12, v7, v10
	v_mul_lo_u32 v10, v7, v10
	v_mul_hi_u32 v14, v7, v8
	v_add_co_u32_e32 v9, vcc, v9, v11
	v_addc_co_u32_e32 v11, vcc, 0, v13, vcc
	v_mul_lo_u32 v8, v7, v8
	v_add_co_u32_e32 v9, vcc, v9, v10
	v_addc_co_u32_e32 v9, vcc, v11, v12, vcc
	v_addc_co_u32_e32 v10, vcc, 0, v14, vcc
	v_add_co_u32_e32 v8, vcc, v9, v8
	v_addc_co_u32_e32 v9, vcc, 0, v10, vcc
	v_add_co_u32_e32 v4, vcc, v4, v8
	v_addc_co_u32_e32 v7, vcc, v7, v9, vcc
	v_mul_lo_u32 v8, s0, v7
	v_mul_hi_u32 v9, s0, v4
	v_mul_lo_u32 v10, s1, v4
	v_mul_lo_u32 v11, s0, v4
	v_add_u32_e32 v8, v9, v8
	v_add_u32_e32 v8, v8, v10
	v_mul_lo_u32 v12, v4, v8
	v_mul_hi_u32 v13, v4, v11
	v_mul_hi_u32 v14, v4, v8
	;; [unrolled: 1-line block ×3, first 2 shown]
	v_mul_lo_u32 v11, v7, v11
	v_mul_hi_u32 v9, v7, v8
	v_add_co_u32_e32 v12, vcc, v13, v12
	v_addc_co_u32_e32 v13, vcc, 0, v14, vcc
	v_mul_lo_u32 v8, v7, v8
	v_add_co_u32_e32 v11, vcc, v12, v11
	v_addc_co_u32_e32 v10, vcc, v13, v10, vcc
	v_addc_co_u32_e32 v9, vcc, 0, v9, vcc
	v_add_co_u32_e32 v8, vcc, v10, v8
	v_addc_co_u32_e32 v9, vcc, 0, v9, vcc
	v_add_co_u32_e32 v4, vcc, v4, v8
	v_addc_co_u32_e32 v9, vcc, v7, v9, vcc
	v_mad_u64_u32 v[7:8], s[0:1], v5, v9, 0
	v_mul_hi_u32 v10, v5, v4
	v_add_co_u32_e32 v11, vcc, v10, v7
	v_addc_co_u32_e32 v12, vcc, 0, v8, vcc
	v_mad_u64_u32 v[7:8], s[0:1], v6, v4, 0
	v_mad_u64_u32 v[9:10], s[0:1], v6, v9, 0
	v_add_co_u32_e32 v4, vcc, v11, v7
	v_addc_co_u32_e32 v4, vcc, v12, v8, vcc
	v_addc_co_u32_e32 v7, vcc, 0, v10, vcc
	v_add_co_u32_e32 v4, vcc, v4, v9
	v_addc_co_u32_e32 v9, vcc, 0, v7, vcc
	v_mul_lo_u32 v10, s19, v4
	v_mul_lo_u32 v11, s18, v9
	v_mad_u64_u32 v[7:8], s[0:1], s18, v4, 0
	v_add3_u32 v8, v8, v11, v10
	v_sub_u32_e32 v10, v6, v8
	v_mov_b32_e32 v11, s19
	v_sub_co_u32_e32 v7, vcc, v5, v7
	v_subb_co_u32_e64 v10, s[0:1], v10, v11, vcc
	v_subrev_co_u32_e64 v11, s[0:1], s18, v7
	v_subbrev_co_u32_e64 v10, s[0:1], 0, v10, s[0:1]
	v_cmp_le_u32_e64 s[0:1], s19, v10
	v_cndmask_b32_e64 v12, 0, -1, s[0:1]
	v_cmp_le_u32_e64 s[0:1], s18, v11
	v_cndmask_b32_e64 v11, 0, -1, s[0:1]
	v_cmp_eq_u32_e64 s[0:1], s19, v10
	v_cndmask_b32_e64 v10, v12, v11, s[0:1]
	v_add_co_u32_e64 v11, s[0:1], 2, v4
	v_addc_co_u32_e64 v12, s[0:1], 0, v9, s[0:1]
	v_add_co_u32_e64 v13, s[0:1], 1, v4
	v_addc_co_u32_e64 v14, s[0:1], 0, v9, s[0:1]
	v_subb_co_u32_e32 v8, vcc, v6, v8, vcc
	v_cmp_ne_u32_e64 s[0:1], 0, v10
	v_cmp_le_u32_e32 vcc, s19, v8
	v_cndmask_b32_e64 v10, v14, v12, s[0:1]
	v_cndmask_b32_e64 v12, 0, -1, vcc
	v_cmp_le_u32_e32 vcc, s18, v7
	v_cndmask_b32_e64 v7, 0, -1, vcc
	v_cmp_eq_u32_e32 vcc, s19, v8
	v_cndmask_b32_e32 v7, v12, v7, vcc
	v_cmp_ne_u32_e32 vcc, 0, v7
	v_cndmask_b32_e64 v7, v13, v11, s[0:1]
	v_cndmask_b32_e32 v8, v9, v10, vcc
	v_cndmask_b32_e32 v7, v4, v7, vcc
.LBB0_4:                                ;   in Loop: Header=BB0_2 Depth=1
	s_andn2_saveexec_b64 s[0:1], s[20:21]
	s_cbranch_execz .LBB0_6
; %bb.5:                                ;   in Loop: Header=BB0_2 Depth=1
	v_cvt_f32_u32_e32 v4, s18
	s_sub_i32 s20, 0, s18
	v_rcp_iflag_f32_e32 v4, v4
	v_mul_f32_e32 v4, 0x4f7ffffe, v4
	v_cvt_u32_f32_e32 v4, v4
	v_mul_lo_u32 v7, s20, v4
	v_mul_hi_u32 v7, v4, v7
	v_add_u32_e32 v4, v4, v7
	v_mul_hi_u32 v4, v5, v4
	v_mul_lo_u32 v7, v4, s18
	v_add_u32_e32 v8, 1, v4
	v_sub_u32_e32 v7, v5, v7
	v_subrev_u32_e32 v9, s18, v7
	v_cmp_le_u32_e32 vcc, s18, v7
	v_cndmask_b32_e32 v7, v7, v9, vcc
	v_cndmask_b32_e32 v4, v4, v8, vcc
	v_add_u32_e32 v8, 1, v4
	v_cmp_le_u32_e32 vcc, s18, v7
	v_cndmask_b32_e32 v7, v4, v8, vcc
	v_mov_b32_e32 v8, v3
.LBB0_6:                                ;   in Loop: Header=BB0_2 Depth=1
	s_or_b64 exec, exec, s[0:1]
	v_mul_lo_u32 v4, v8, s18
	v_mul_lo_u32 v11, v7, s19
	v_mad_u64_u32 v[9:10], s[0:1], v7, s18, 0
	s_load_dwordx2 s[0:1], s[6:7], 0x0
	s_add_u32 s16, s16, 1
	v_add3_u32 v4, v10, v11, v4
	v_sub_co_u32_e32 v5, vcc, v5, v9
	v_subb_co_u32_e32 v4, vcc, v6, v4, vcc
	s_waitcnt lgkmcnt(0)
	v_mul_lo_u32 v4, s0, v4
	v_mul_lo_u32 v6, s1, v5
	v_mad_u64_u32 v[1:2], s[0:1], s0, v5, v[1:2]
	s_addc_u32 s17, s17, 0
	s_add_u32 s6, s6, 8
	v_add3_u32 v2, v6, v2, v4
	v_mov_b32_e32 v4, s10
	v_mov_b32_e32 v5, s11
	s_addc_u32 s7, s7, 0
	v_cmp_ge_u64_e32 vcc, s[16:17], v[4:5]
	s_add_u32 s14, s14, 8
	s_addc_u32 s15, s15, 0
	s_cbranch_vccnz .LBB0_9
; %bb.7:                                ;   in Loop: Header=BB0_2 Depth=1
	v_mov_b32_e32 v5, v7
	v_mov_b32_e32 v6, v8
	s_branch .LBB0_2
.LBB0_8:
	v_mov_b32_e32 v8, v6
	v_mov_b32_e32 v7, v5
.LBB0_9:
	s_lshl_b64 s[0:1], s[10:11], 3
	s_add_u32 s0, s2, s0
	s_addc_u32 s1, s3, s1
	s_load_dwordx2 s[2:3], s[0:1], 0x0
	s_load_dwordx2 s[6:7], s[4:5], 0x20
	v_mov_b32_e32 v10, 0
	v_mov_b32_e32 v9, 0
                                        ; implicit-def: $vgpr12
                                        ; implicit-def: $vgpr14
                                        ; implicit-def: $vgpr16
                                        ; implicit-def: $vgpr18
                                        ; implicit-def: $vgpr20
                                        ; implicit-def: $vgpr22
                                        ; implicit-def: $vgpr24
                                        ; implicit-def: $vgpr26
                                        ; implicit-def: $vgpr28
                                        ; implicit-def: $vgpr30
                                        ; implicit-def: $vgpr32
                                        ; implicit-def: $vgpr34
                                        ; implicit-def: $vgpr36
                                        ; implicit-def: $vgpr38
                                        ; implicit-def: $vgpr42
                                        ; implicit-def: $vgpr40
	s_waitcnt lgkmcnt(0)
	v_mad_u64_u32 v[1:2], s[0:1], s2, v7, v[1:2]
	s_mov_b32 s0, 0x1e1e1e2
	v_mul_lo_u32 v3, s2, v8
	v_mul_lo_u32 v4, s3, v7
	v_mul_hi_u32 v5, v0, s0
	v_cmp_gt_u64_e64 s[0:1], s[6:7], v[7:8]
	s_movk_i32 s2, 0x68
	v_add3_u32 v2, v4, v2, v3
	v_mul_u32_u24_e32 v3, 0x88, v5
	v_sub_u32_e32 v0, v0, v3
	v_cmp_gt_u32_e64 s[2:3], s2, v0
	v_lshlrev_b64 v[2:3], 3, v[1:2]
	s_and_b64 s[6:7], s[0:1], s[2:3]
	s_and_saveexec_b64 s[4:5], s[6:7]
	s_cbranch_execz .LBB0_11
; %bb.10:
	v_mov_b32_e32 v1, 0
	v_mov_b32_e32 v4, s13
	v_add_co_u32_e32 v10, vcc, s12, v2
	v_addc_co_u32_e32 v11, vcc, v4, v3, vcc
	v_lshlrev_b64 v[4:5], 3, v[0:1]
	s_movk_i32 s6, 0x1000
	v_add_co_u32_e32 v4, vcc, v10, v4
	v_addc_co_u32_e32 v5, vcc, v11, v5, vcc
	v_add_co_u32_e32 v6, vcc, s6, v4
	v_addc_co_u32_e32 v7, vcc, 0, v5, vcc
	s_movk_i32 s6, 0x2000
	v_add_co_u32_e32 v39, vcc, s6, v4
	v_addc_co_u32_e32 v40, vcc, 0, v5, vcc
	s_movk_i32 s6, 0x3000
	v_or_b32_e32 v8, 0x680, v0
	v_mov_b32_e32 v9, v1
	v_add_co_u32_e32 v43, vcc, s6, v4
	v_lshlrev_b64 v[8:9], 3, v[8:9]
	v_addc_co_u32_e32 v44, vcc, 0, v5, vcc
	v_add_co_u32_e32 v45, vcc, v10, v8
	v_addc_co_u32_e32 v46, vcc, v11, v9, vcc
	global_load_dwordx2 v[9:10], v[4:5], off
	global_load_dwordx2 v[11:12], v[4:5], off offset:832
	global_load_dwordx2 v[13:14], v[4:5], off offset:1664
	global_load_dwordx2 v[15:16], v[4:5], off offset:2496
	global_load_dwordx2 v[17:18], v[4:5], off offset:3328
	global_load_dwordx2 v[19:20], v[6:7], off offset:64
	global_load_dwordx2 v[21:22], v[6:7], off offset:896
	global_load_dwordx2 v[23:24], v[6:7], off offset:1728
	global_load_dwordx2 v[25:26], v[6:7], off offset:2560
	global_load_dwordx2 v[27:28], v[6:7], off offset:3392
	global_load_dwordx2 v[29:30], v[39:40], off offset:128
	global_load_dwordx2 v[31:32], v[39:40], off offset:960
	global_load_dwordx2 v[33:34], v[39:40], off offset:1792
	global_load_dwordx2 v[35:36], v[39:40], off offset:2624
	global_load_dwordx2 v[37:38], v[39:40], off offset:3456
                                        ; kill: killed $vgpr4 killed $vgpr5
                                        ; kill: killed $vgpr6 killed $vgpr7
                                        ; kill: killed $vgpr39 killed $vgpr40
	s_nop 0
	global_load_dwordx2 v[39:40], v[43:44], off offset:192
	global_load_dwordx2 v[41:42], v[45:46], off
.LBB0_11:
	s_or_b64 exec, exec, s[4:5]
	s_waitcnt vmcnt(0)
	v_add_f32_e32 v1, v11, v41
	v_mul_f32_e32 v47, 0x3f3d2fb0, v1
	v_add_f32_e32 v6, v13, v39
	v_sub_f32_e32 v8, v12, v42
	v_mov_b32_e32 v4, v47
	v_mul_f32_e32 v50, 0x3dbcf732, v6
	v_fmac_f32_e32 v4, 0xbf2c7751, v8
	v_sub_f32_e32 v44, v14, v40
	v_mov_b32_e32 v5, v50
	v_add_f32_e32 v4, v9, v4
	v_fmac_f32_e32 v5, 0xbf7ee86f, v44
	v_mul_f32_e32 v59, 0x3ee437d1, v1
	v_add_f32_e32 v4, v4, v5
	v_mov_b32_e32 v5, v59
	v_mul_f32_e32 v61, 0xbf1a4643, v6
	v_fmac_f32_e32 v5, 0xbf65296c, v8
	v_mov_b32_e32 v7, v61
	v_add_f32_e32 v43, v15, v37
	v_add_f32_e32 v5, v9, v5
	v_fmac_f32_e32 v7, 0xbf4c4adb, v44
	v_mul_f32_e32 v54, 0xbf1a4643, v43
	v_add_f32_e32 v5, v5, v7
	v_sub_f32_e32 v48, v16, v38
	v_mov_b32_e32 v7, v54
	v_fmac_f32_e32 v7, 0xbf4c4adb, v48
	v_mul_f32_e32 v64, 0xbf7ba420, v43
	v_add_f32_e32 v4, v7, v4
	v_mov_b32_e32 v7, v64
	v_add_f32_e32 v45, v17, v35
	v_fmac_f32_e32 v7, 0x3e3c28d5, v48
	v_mul_f32_e32 v57, 0xbf7ba420, v45
	v_add_f32_e32 v5, v7, v5
	v_sub_f32_e32 v51, v18, v36
	v_mov_b32_e32 v7, v57
	v_fmac_f32_e32 v7, 0xbe3c28d5, v51
	v_mul_f32_e32 v66, 0xbe8c1d8e, v45
	v_add_f32_e32 v4, v7, v4
	v_mov_b32_e32 v7, v66
	;; [unrolled: 10-line block ×6, first 2 shown]
	v_fmac_f32_e32 v4, 0xbf06c442, v62
	v_mul_f32_e32 v72, 0x3dbcf732, v1
	v_add_f32_e32 v4, v4, v7
	v_mov_b32_e32 v7, v72
	v_mul_f32_e32 v73, 0xbf7ba420, v6
	v_fmac_f32_e32 v7, 0xbf7ee86f, v8
	v_mov_b32_e32 v74, v73
	v_add_f32_e32 v7, v9, v7
	v_fmac_f32_e32 v74, 0xbe3c28d5, v44
	v_add_f32_e32 v7, v7, v74
	v_mul_f32_e32 v74, 0xbe8c1d8e, v43
	v_mov_b32_e32 v75, v74
	v_fmac_f32_e32 v75, 0x3f763a35, v48
	v_add_f32_e32 v7, v75, v7
	v_mul_f32_e32 v75, 0x3f6eb680, v45
	v_mov_b32_e32 v76, v75
	;; [unrolled: 4-line block ×6, first 2 shown]
	v_fmac_f32_e32 v80, 0x3f2c7751, v62
	s_mov_b32 s6, 0x3f3d2fb0
	s_mov_b32 s15, 0x3ee437d1
	;; [unrolled: 1-line block ×8, first 2 shown]
	v_add_f32_e32 v7, v80, v7
	s_and_saveexec_b64 s[4:5], s[2:3]
	s_cbranch_execz .LBB0_13
; %bb.12:
	v_mul_f32_e32 v80, 0xbe3c28d5, v8
	v_mov_b32_e32 v81, v80
	v_mul_f32_e32 v82, 0x3eb8f4ab, v44
	v_fmac_f32_e32 v81, 0xbf7ba420, v1
	v_mov_b32_e32 v83, v82
	v_add_f32_e32 v81, v9, v81
	v_fmac_f32_e32 v83, 0x3f6eb680, v6
	v_add_f32_e32 v81, v81, v83
	v_mul_f32_e32 v83, 0xbf06c442, v48
	v_mov_b32_e32 v84, v83
	v_fmac_f32_e32 v84, 0xbf59a7d5, v43
	v_add_f32_e32 v81, v84, v81
	v_mul_f32_e32 v84, 0x3f2c7751, v51
	v_mov_b32_e32 v85, v84
	;; [unrolled: 4-line block ×3, first 2 shown]
	v_fmac_f32_e32 v86, 0xbf1a4643, v46
	v_add_f32_e32 v81, v86, v81
	v_mul_f32_e32 v86, 0x3f65296c, v55
	v_fma_f32 v80, v1, s17, -v80
	v_mov_b32_e32 v87, v86
	v_add_f32_e32 v80, v9, v80
	v_fma_f32 v82, v6, s10, -v82
	v_fmac_f32_e32 v87, 0x3ee437d1, v49
	v_add_f32_e32 v80, v80, v82
	v_fma_f32 v82, v43, s7, -v83
	v_add_f32_e32 v81, v87, v81
	v_mul_f32_e32 v87, 0xbf763a35, v58
	v_add_f32_e32 v80, v82, v80
	v_fma_f32 v82, v45, s6, -v84
	v_mov_b32_e32 v88, v87
	v_add_f32_e32 v80, v82, v80
	v_fma_f32 v82, v46, s11, -v85
	v_fmac_f32_e32 v88, 0xbe8c1d8e, v53
	v_add_f32_e32 v80, v82, v80
	v_fma_f32 v82, v49, s15, -v86
	v_add_f32_e32 v81, v88, v81
	v_mul_f32_e32 v88, 0x3f7ee86f, v62
	v_add_f32_e32 v80, v82, v80
	v_fma_f32 v82, v53, s16, -v87
	v_add_f32_e32 v80, v82, v80
	v_fma_f32 v82, v56, s14, -v88
	v_add_f32_e32 v80, v82, v80
	v_mul_f32_e32 v82, 0xbf06c442, v8
	v_mov_b32_e32 v83, v82
	v_mul_f32_e32 v84, 0x3f65296c, v44
	v_fmac_f32_e32 v83, 0xbf59a7d5, v1
	v_mov_b32_e32 v85, v84
	v_add_f32_e32 v83, v9, v83
	v_fmac_f32_e32 v85, 0x3ee437d1, v6
	v_add_f32_e32 v83, v83, v85
	v_mul_f32_e32 v85, 0xbf7ee86f, v48
	v_mov_b32_e32 v86, v85
	v_fmac_f32_e32 v86, 0x3dbcf732, v43
	v_add_f32_e32 v83, v86, v83
	v_mul_f32_e32 v86, 0x3f4c4adb, v51
	v_mov_b32_e32 v87, v86
	v_fmac_f32_e32 v87, 0xbf1a4643, v45
	v_add_f32_e32 v83, v87, v83
	v_mul_f32_e32 v87, 0xbeb8f4ab, v52
	v_mov_b32_e32 v89, v88
	v_mov_b32_e32 v88, v87
	v_fmac_f32_e32 v88, 0x3f6eb680, v46
	v_fmac_f32_e32 v89, 0x3dbcf732, v56
	v_add_f32_e32 v83, v88, v83
	v_mul_f32_e32 v88, 0xbe3c28d5, v55
	v_fma_f32 v82, v1, s7, -v82
	v_add_f32_e32 v81, v89, v81
	v_mov_b32_e32 v89, v88
	v_add_f32_e32 v82, v9, v82
	v_fma_f32 v84, v6, s15, -v84
	v_fmac_f32_e32 v89, 0xbf7ba420, v49
	v_add_f32_e32 v82, v82, v84
	v_fma_f32 v84, v43, s14, -v85
	v_add_f32_e32 v83, v89, v83
	v_mul_f32_e32 v89, 0x3f2c7751, v58
	v_add_f32_e32 v82, v84, v82
	v_fma_f32 v84, v45, s11, -v86
	v_mov_b32_e32 v90, v89
	v_add_f32_e32 v82, v84, v82
	v_fma_f32 v84, v46, s10, -v87
	v_fmac_f32_e32 v90, 0x3f3d2fb0, v53
	v_add_f32_e32 v82, v84, v82
	v_fma_f32 v84, v49, s17, -v88
	v_add_f32_e32 v83, v90, v83
	v_mul_f32_e32 v90, 0xbf763a35, v62
	v_add_f32_e32 v82, v84, v82
	v_fma_f32 v84, v53, s6, -v89
	v_add_f32_e32 v82, v84, v82
	v_fma_f32 v84, v56, s16, -v90
	v_add_f32_e32 v82, v84, v82
	v_mul_f32_e32 v84, 0xbf4c4adb, v8
	v_mov_b32_e32 v85, v84
	v_mul_f32_e32 v86, 0x3f763a35, v44
	v_fmac_f32_e32 v85, 0xbf1a4643, v1
	v_mov_b32_e32 v87, v86
	v_add_f32_e32 v85, v9, v85
	v_fmac_f32_e32 v87, 0xbe8c1d8e, v6
	v_add_f32_e32 v85, v85, v87
	v_mul_f32_e32 v87, 0xbeb8f4ab, v48
	v_mov_b32_e32 v88, v87
	v_fmac_f32_e32 v88, 0x3f6eb680, v43
	v_add_f32_e32 v85, v88, v85
	v_mul_f32_e32 v88, 0xbf06c442, v51
	v_mov_b32_e32 v89, v88
	v_fmac_f32_e32 v89, 0xbf59a7d5, v45
	v_add_f32_e32 v85, v89, v85
	v_mul_f32_e32 v89, 0x3f7ee86f, v52
	v_mov_b32_e32 v91, v90
	v_mov_b32_e32 v90, v89
	v_fmac_f32_e32 v90, 0x3dbcf732, v46
	v_fmac_f32_e32 v91, 0xbe8c1d8e, v56
	v_add_f32_e32 v85, v90, v85
	v_mul_f32_e32 v90, 0xbf2c7751, v55
	v_fma_f32 v84, v1, s11, -v84
	v_add_f32_e32 v83, v91, v83
	;; [unrolled: 48-line block ×3, first 2 shown]
	v_mov_b32_e32 v93, v92
	v_add_f32_e32 v86, v9, v86
	v_fma_f32 v88, v6, s7, -v88
	v_fmac_f32_e32 v93, 0x3dbcf732, v49
	v_add_f32_e32 v86, v86, v88
	v_fma_f32 v88, v43, s6, -v89
	v_add_f32_e32 v87, v93, v87
	v_mul_f32_e32 v93, 0xbeb8f4ab, v58
	v_add_f32_e32 v86, v88, v86
	v_fma_f32 v88, v45, s15, -v90
	v_mov_b32_e32 v94, v93
	v_add_f32_e32 v86, v88, v86
	v_fma_f32 v88, v46, s17, -v91
	v_fmac_f32_e32 v94, 0x3f6eb680, v53
	v_add_f32_e32 v86, v88, v86
	v_fma_f32 v88, v49, s14, -v92
	v_add_f32_e32 v87, v94, v87
	v_mul_f32_e32 v94, 0xbf4c4adb, v62
	v_add_f32_e32 v86, v88, v86
	v_fma_f32 v88, v53, s10, -v93
	v_add_f32_e32 v86, v88, v86
	v_fma_f32 v88, v56, s11, -v94
	v_add_f32_e32 v86, v88, v86
	v_mul_f32_e32 v88, 0xbf7ee86f, v8
	v_sub_f32_e32 v72, v72, v88
	v_mul_f32_e32 v88, 0xbe3c28d5, v44
	v_sub_f32_e32 v73, v73, v88
	v_add_f32_e32 v72, v9, v72
	v_add_f32_e32 v72, v72, v73
	v_mul_f32_e32 v73, 0x3f763a35, v48
	v_sub_f32_e32 v73, v74, v73
	v_add_f32_e32 v72, v73, v72
	v_mul_f32_e32 v73, 0x3eb8f4ab, v51
	v_sub_f32_e32 v73, v75, v73
	;; [unrolled: 3-line block ×7, first 2 shown]
	v_mul_f32_e32 v73, 0xbf4c4adb, v44
	v_sub_f32_e32 v61, v61, v73
	v_add_f32_e32 v59, v9, v59
	v_add_f32_e32 v59, v59, v61
	v_mul_f32_e32 v61, 0x3e3c28d5, v48
	v_sub_f32_e32 v61, v64, v61
	v_add_f32_e32 v59, v61, v59
	v_mul_f32_e32 v61, 0x3f763a35, v51
	v_sub_f32_e32 v61, v66, v61
	;; [unrolled: 3-line block ×7, first 2 shown]
	v_mul_f32_e32 v61, 0xbf7ee86f, v44
	v_sub_f32_e32 v50, v50, v61
	v_add_f32_e32 v47, v9, v47
	v_add_f32_e32 v47, v47, v50
	v_mul_f32_e32 v50, 0xbf4c4adb, v48
	v_sub_f32_e32 v50, v54, v50
	v_add_f32_e32 v47, v50, v47
	v_mul_f32_e32 v50, 0xbe3c28d5, v51
	v_sub_f32_e32 v50, v57, v50
	v_mul_f32_e32 v54, 0x3f06c442, v52
	v_add_f32_e32 v47, v50, v47
	v_mul_f32_e32 v50, 0x3f763a35, v55
	v_sub_f32_e32 v54, v60, v54
	v_mul_f32_e32 v57, 0x3f65296c, v58
	v_add_f32_e32 v47, v54, v47
	v_sub_f32_e32 v50, v63, v50
	v_mul_f32_e32 v54, 0x3eb8f4ab, v62
	v_add_f32_e32 v47, v50, v47
	v_sub_f32_e32 v50, v65, v57
	v_add_f32_e32 v47, v50, v47
	v_sub_f32_e32 v50, v67, v54
	v_mul_f32_e32 v8, 0xbeb8f4ab, v8
	v_add_f32_e32 v47, v50, v47
	v_mov_b32_e32 v50, v8
	v_mul_f32_e32 v44, 0xbf2c7751, v44
	v_fmac_f32_e32 v50, 0x3f6eb680, v1
	v_mov_b32_e32 v54, v44
	v_add_f32_e32 v50, v9, v50
	v_fmac_f32_e32 v54, 0x3f3d2fb0, v6
	v_mul_f32_e32 v48, 0xbf65296c, v48
	v_add_f32_e32 v50, v50, v54
	v_mov_b32_e32 v54, v48
	v_fmac_f32_e32 v54, 0x3ee437d1, v43
	v_mul_f32_e32 v51, 0xbf7ee86f, v51
	v_add_f32_e32 v50, v54, v50
	v_mov_b32_e32 v54, v51
	v_fmac_f32_e32 v54, 0x3dbcf732, v45
	v_mul_f32_e32 v52, 0xbf763a35, v52
	v_add_f32_e32 v50, v54, v50
	v_mov_b32_e32 v54, v52
	v_fmac_f32_e32 v54, 0xbe8c1d8e, v46
	v_add_f32_e32 v50, v54, v50
	v_mul_f32_e32 v54, 0xbf4c4adb, v55
	v_fma_f32 v1, v1, s10, -v8
	v_mov_b32_e32 v55, v54
	v_add_f32_e32 v1, v9, v1
	v_fma_f32 v6, v6, s6, -v44
	v_fmac_f32_e32 v55, 0xbf1a4643, v49
	v_add_f32_e32 v1, v1, v6
	v_fma_f32 v6, v43, s15, -v48
	v_add_f32_e32 v50, v55, v50
	v_mul_f32_e32 v55, 0xbf06c442, v58
	v_add_f32_e32 v1, v6, v1
	v_fma_f32 v6, v45, s14, -v51
	v_mov_b32_e32 v57, v55
	v_add_f32_e32 v1, v6, v1
	v_fma_f32 v6, v46, s16, -v52
	v_fmac_f32_e32 v57, 0xbf59a7d5, v53
	v_add_f32_e32 v1, v6, v1
	v_fma_f32 v6, v49, s11, -v54
	v_add_f32_e32 v50, v57, v50
	v_mul_f32_e32 v57, 0xbe3c28d5, v62
	v_add_f32_e32 v1, v6, v1
	v_fma_f32 v6, v53, s7, -v55
	v_add_f32_e32 v1, v6, v1
	v_fma_f32 v6, v56, s17, -v57
	v_add_f32_e32 v1, v6, v1
	v_add_f32_e32 v6, v9, v11
	;; [unrolled: 1-line block ×15, first 2 shown]
	v_mov_b32_e32 v95, v94
	v_mov_b32_e32 v58, v57
	v_add_f32_e32 v6, v6, v39
	s_movk_i32 s18, 0x44
	v_fmac_f32_e32 v95, 0xbf1a4643, v56
	v_fmac_f32_e32 v58, 0xbf7ba420, v56
	v_add_f32_e32 v6, v41, v6
	v_mad_u32_u24 v8, v0, s18, 0
	v_add_f32_e32 v87, v95, v87
	v_add_f32_e32 v50, v58, v50
	ds_write2_b32 v8, v6, v1 offset1:1
	ds_write2_b32 v8, v47, v59 offset0:2 offset1:3
	ds_write2_b32 v8, v72, v86 offset0:4 offset1:5
	;; [unrolled: 1-line block ×7, first 2 shown]
	ds_write_b32 v8, v50 offset:64
.LBB0_13:
	s_or_b64 exec, exec, s[4:5]
	v_sub_f32_e32 v80, v11, v41
	v_add_f32_e32 v77, v12, v42
	v_mul_f32_e32 v82, 0xbf2c7751, v80
	v_sub_f32_e32 v73, v13, v39
	v_fma_f32 v1, v77, s6, -v82
	v_mul_f32_e32 v83, 0xbf65296c, v80
	v_add_f32_e32 v72, v14, v40
	v_mul_f32_e32 v78, 0xbf7ee86f, v73
	v_add_f32_e32 v1, v10, v1
	v_fma_f32 v6, v77, s15, -v83
	v_mul_f32_e32 v84, 0xbf7ee86f, v80
	v_fma_f32 v9, v72, s14, -v78
	v_mul_f32_e32 v79, 0xbf4c4adb, v73
	v_add_f32_e32 v6, v10, v6
	v_fma_f32 v8, v77, s14, -v84
	v_add_f32_e32 v1, v1, v9
	v_fma_f32 v9, v72, s11, -v79
	v_mul_f32_e32 v81, 0xbe3c28d5, v73
	v_sub_f32_e32 v68, v15, v37
	v_add_f32_e32 v8, v10, v8
	v_add_f32_e32 v6, v6, v9
	v_fma_f32 v9, v72, s17, -v81
	v_add_f32_e32 v67, v16, v38
	v_mul_f32_e32 v74, 0xbf4c4adb, v68
	v_add_f32_e32 v8, v8, v9
	v_fma_f32 v9, v67, s11, -v74
	v_mul_f32_e32 v75, 0x3e3c28d5, v68
	v_add_f32_e32 v1, v9, v1
	v_fma_f32 v9, v67, s17, -v75
	v_mul_f32_e32 v76, 0x3f763a35, v68
	v_sub_f32_e32 v63, v17, v35
	v_add_f32_e32 v6, v9, v6
	v_fma_f32 v9, v67, s16, -v76
	v_add_f32_e32 v62, v18, v36
	v_mul_f32_e32 v69, 0xbe3c28d5, v63
	v_add_f32_e32 v8, v9, v8
	v_fma_f32 v9, v62, s17, -v69
	v_mul_f32_e32 v70, 0x3f763a35, v63
	v_add_f32_e32 v1, v9, v1
	v_fma_f32 v9, v62, s16, -v70
	v_mul_f32_e32 v71, 0x3eb8f4ab, v63
	v_sub_f32_e32 v58, v19, v33
	;; [unrolled: 11-line block ×5, first 2 shown]
	v_add_f32_e32 v6, v9, v6
	v_fma_f32 v9, v31, s11, -v56
	v_add_f32_e32 v23, v26, v28
	v_mul_f32_e32 v27, 0x3eb8f4ab, v25
	v_add_f32_e32 v11, v9, v8
	v_fma_f32 v8, v23, s10, -v27
	v_mul_f32_e32 v33, 0xbf06c442, v25
	v_add_f32_e32 v9, v8, v1
	v_fma_f32 v1, v23, s7, -v33
	v_add_f32_e32 v8, v1, v6
	v_lshl_add_u32 v1, v0, 2, 0
	v_add_u32_e32 v13, 0x400, v1
	v_add_u32_e32 v15, 0x800, v1
	;; [unrolled: 1-line block ×5, first 2 shown]
	s_waitcnt lgkmcnt(0)
	s_barrier
	ds_read2_b32 v[43:44], v1 offset1:136
	ds_read2_b32 v[53:54], v13 offset0:16 offset1:152
	ds_read2_b32 v[51:52], v15 offset0:32 offset1:168
	;; [unrolled: 1-line block ×5, first 2 shown]
	ds_read_b32 v6, v1 offset:6528
	v_mul_f32_e32 v35, 0x3f2c7751, v25
	v_fma_f32 v85, v23, s6, -v35
	v_add_f32_e32 v11, v85, v11
	s_waitcnt lgkmcnt(0)
	s_barrier
	s_and_saveexec_b64 s[4:5], s[2:3]
	s_cbranch_execz .LBB0_15
; %bb.14:
	v_add_f32_e32 v12, v10, v12
	v_add_f32_e32 v12, v12, v14
	;; [unrolled: 1-line block ×13, first 2 shown]
	v_mul_f32_e32 v36, 0xbe3c28d5, v80
	v_mul_f32_e32 v85, 0x3f3d2fb0, v77
	;; [unrolled: 1-line block ×4, first 2 shown]
	v_add_f32_e32 v12, v12, v38
	v_mul_f32_e32 v14, 0xbeb8f4ab, v80
	s_mov_b32 s6, 0x3f6eb680
	v_mul_f32_e32 v24, 0xbf763a35, v80
	s_mov_b32 s2, 0xbe8c1d8e
	;; [unrolled: 2-line block ×4, first 2 shown]
	s_mov_b32 s7, 0xbf7ba420
	v_mov_b32_e32 v38, v36
	v_fma_f32 v16, v77, s6, -v14
	v_fmac_f32_e32 v14, 0x3f6eb680, v77
	v_add_f32_e32 v18, v85, v82
	v_add_f32_e32 v20, v86, v83
	;; [unrolled: 1-line block ×3, first 2 shown]
	v_fma_f32 v26, v77, s2, -v24
	v_fmac_f32_e32 v24, 0xbe8c1d8e, v77
	v_fma_f32 v30, v77, s3, -v28
	v_fmac_f32_e32 v28, 0xbf1a4643, v77
	v_fma_f32 v34, v77, s14, -v32
	v_fmac_f32_e32 v32, 0xbf59a7d5, v77
	v_fmac_f32_e32 v38, 0xbf7ba420, v77
	v_fma_f32 v36, v77, s7, -v36
	v_add_f32_e32 v14, v10, v14
	v_add_f32_e32 v16, v10, v16
	;; [unrolled: 1-line block ×13, first 2 shown]
	v_mul_f32_e32 v36, 0xbf2c7751, v73
	s_mov_b32 s11, 0x3f3d2fb0
	v_mul_f32_e32 v88, 0x3dbcf732, v72
	v_add_f32_e32 v12, v12, v40
	v_fma_f32 v40, v72, s11, -v36
	v_fmac_f32_e32 v36, 0x3f3d2fb0, v72
	v_mul_f32_e32 v89, 0xbf1a4643, v72
	v_add_f32_e32 v14, v14, v36
	v_add_f32_e32 v36, v88, v78
	v_mul_f32_e32 v90, 0xbf7ba420, v72
	v_add_f32_e32 v18, v18, v36
	v_add_f32_e32 v36, v89, v79
	;; [unrolled: 1-line block ×5, first 2 shown]
	v_mul_f32_e32 v36, 0x3f06c442, v73
	v_add_f32_e32 v16, v16, v40
	v_fma_f32 v40, v72, s14, -v36
	v_fmac_f32_e32 v36, 0xbf59a7d5, v72
	v_add_f32_e32 v24, v24, v36
	v_mul_f32_e32 v36, 0x3f763a35, v73
	v_add_f32_e32 v26, v26, v40
	v_fma_f32 v40, v72, s2, -v36
	v_fmac_f32_e32 v36, 0xbe8c1d8e, v72
	v_add_f32_e32 v28, v28, v36
	v_mul_f32_e32 v36, 0x3f65296c, v73
	s_mov_b32 s10, 0x3ee437d1
	v_add_f32_e32 v30, v30, v40
	v_fma_f32 v40, v72, s10, -v36
	v_fmac_f32_e32 v36, 0x3ee437d1, v72
	v_add_f32_e32 v32, v32, v36
	v_mul_f32_e32 v36, 0x3eb8f4ab, v73
	v_add_f32_e32 v34, v34, v40
	v_mov_b32_e32 v40, v36
	v_fma_f32 v36, v72, s6, -v36
	v_fmac_f32_e32 v40, 0x3f6eb680, v72
	v_add_f32_e32 v10, v10, v36
	v_mul_f32_e32 v36, 0xbf65296c, v68
	v_mul_f32_e32 v91, 0xbf1a4643, v67
	v_add_f32_e32 v38, v38, v40
	v_fma_f32 v40, v67, s10, -v36
	v_fmac_f32_e32 v36, 0x3ee437d1, v67
	v_mul_f32_e32 v92, 0xbf7ba420, v67
	v_add_f32_e32 v14, v36, v14
	v_add_f32_e32 v36, v91, v74
	v_mul_f32_e32 v93, 0xbe8c1d8e, v67
	v_add_f32_e32 v18, v36, v18
	v_add_f32_e32 v36, v92, v75
	;; [unrolled: 1-line block ×5, first 2 shown]
	v_mul_f32_e32 v36, 0x3f2c7751, v68
	v_add_f32_e32 v16, v40, v16
	v_fma_f32 v40, v67, s11, -v36
	v_fmac_f32_e32 v36, 0x3f3d2fb0, v67
	v_add_f32_e32 v24, v36, v24
	v_mul_f32_e32 v36, 0xbeb8f4ab, v68
	v_add_f32_e32 v26, v40, v26
	v_fma_f32 v40, v67, s6, -v36
	v_fmac_f32_e32 v36, 0x3f6eb680, v67
	v_add_f32_e32 v28, v36, v28
	v_mul_f32_e32 v36, 0xbf7ee86f, v68
	s_mov_b32 s15, 0x3dbcf732
	v_add_f32_e32 v30, v40, v30
	v_fma_f32 v40, v67, s15, -v36
	v_fmac_f32_e32 v36, 0x3dbcf732, v67
	v_add_f32_e32 v32, v36, v32
	v_mul_f32_e32 v36, 0xbf06c442, v68
	v_add_f32_e32 v34, v40, v34
	v_mov_b32_e32 v40, v36
	v_fma_f32 v36, v67, s14, -v36
	v_fmac_f32_e32 v40, 0xbf59a7d5, v67
	v_add_f32_e32 v10, v36, v10
	v_mul_f32_e32 v36, 0xbf7ee86f, v63
	v_mul_f32_e32 v94, 0xbf7ba420, v62
	v_add_f32_e32 v38, v40, v38
	v_fma_f32 v40, v62, s15, -v36
	v_fmac_f32_e32 v36, 0x3dbcf732, v62
	v_mul_f32_e32 v95, 0xbe8c1d8e, v62
	v_add_f32_e32 v14, v36, v14
	v_add_f32_e32 v36, v94, v69
	v_mul_f32_e32 v96, 0x3f6eb680, v62
	v_add_f32_e32 v18, v36, v18
	v_add_f32_e32 v36, v95, v70
	v_add_f32_e32 v20, v36, v20
	v_add_f32_e32 v36, v96, v71
	v_add_f32_e32 v22, v36, v22
	v_mul_f32_e32 v36, 0xbf65296c, v63
	v_add_f32_e32 v16, v40, v16
	v_fma_f32 v40, v62, s10, -v36
	v_fmac_f32_e32 v36, 0x3ee437d1, v62
	v_add_f32_e32 v24, v36, v24
	v_mul_f32_e32 v36, 0xbf06c442, v63
	v_add_f32_e32 v26, v40, v26
	v_fma_f32 v40, v62, s14, -v36
	v_fmac_f32_e32 v36, 0xbf59a7d5, v62
	v_add_f32_e32 v28, v36, v28
	v_mul_f32_e32 v36, 0x3f4c4adb, v63
	v_add_f32_e32 v30, v40, v30
	v_fma_f32 v40, v62, s3, -v36
	v_fmac_f32_e32 v36, 0xbf1a4643, v62
	v_add_f32_e32 v32, v36, v32
	v_mul_f32_e32 v36, 0x3f2c7751, v63
	v_add_f32_e32 v34, v40, v34
	v_mov_b32_e32 v40, v36
	v_fma_f32 v36, v62, s11, -v36
	v_fmac_f32_e32 v40, 0x3f3d2fb0, v62
	v_add_f32_e32 v10, v36, v10
	v_mul_f32_e32 v36, 0xbf763a35, v58
	v_mul_f32_e32 v97, 0xbf59a7d5, v57
	v_add_f32_e32 v38, v40, v38
	v_fma_f32 v40, v57, s2, -v36
	v_fmac_f32_e32 v36, 0xbe8c1d8e, v57
	v_mul_f32_e32 v98, 0x3f3d2fb0, v57
	v_add_f32_e32 v14, v36, v14
	v_add_f32_e32 v36, v97, v64
	v_mul_f32_e32 v99, 0x3ee437d1, v57
	v_add_f32_e32 v18, v36, v18
	v_add_f32_e32 v36, v98, v65
	v_add_f32_e32 v20, v36, v20
	v_add_f32_e32 v36, v99, v66
	v_add_f32_e32 v22, v36, v22
	v_mul_f32_e32 v36, 0xbe3c28d5, v58
	v_add_f32_e32 v16, v40, v16
	v_fma_f32 v40, v57, s7, -v36
	v_fmac_f32_e32 v36, 0xbf7ba420, v57
	v_add_f32_e32 v24, v36, v24
	v_mul_f32_e32 v36, 0x3f7ee86f, v58
	v_add_f32_e32 v26, v40, v26
	v_fma_f32 v40, v57, s15, -v36
	v_fmac_f32_e32 v36, 0x3dbcf732, v57
	v_add_f32_e32 v28, v36, v28
	v_mul_f32_e32 v36, 0xbeb8f4ab, v58
	;; [unrolled: 35-line block ×3, first 2 shown]
	v_add_f32_e32 v30, v40, v30
	v_fma_f32 v40, v37, s7, -v36
	v_fmac_f32_e32 v36, 0xbf7ba420, v37
	v_add_f32_e32 v32, v36, v32
	v_mul_f32_e32 v36, 0x3f65296c, v39
	v_mov_b32_e32 v39, v36
	v_fma_f32 v36, v37, s10, -v36
	v_add_f32_e32 v10, v36, v10
	v_mul_f32_e32 v36, 0xbf06c442, v29
	v_mul_f32_e32 v103, 0x3ee437d1, v31
	v_fmac_f32_e32 v39, 0x3ee437d1, v37
	v_fma_f32 v37, v31, s14, -v36
	v_fmac_f32_e32 v36, 0xbf59a7d5, v31
	v_mul_f32_e32 v104, 0x3dbcf732, v31
	v_add_f32_e32 v14, v36, v14
	v_add_f32_e32 v36, v103, v41
	v_mul_f32_e32 v105, 0xbf1a4643, v31
	v_add_f32_e32 v18, v36, v18
	v_add_f32_e32 v36, v104, v55
	;; [unrolled: 1-line block ×5, first 2 shown]
	v_mul_f32_e32 v36, 0xbeb8f4ab, v29
	v_add_f32_e32 v16, v37, v16
	v_fma_f32 v37, v31, s6, -v36
	v_fmac_f32_e32 v36, 0x3f6eb680, v31
	v_add_f32_e32 v24, v36, v24
	v_mul_f32_e32 v36, 0xbe3c28d5, v29
	v_add_f32_e32 v26, v37, v26
	v_fma_f32 v37, v31, s7, -v36
	v_fmac_f32_e32 v36, 0xbf7ba420, v31
	v_mul_f32_e32 v106, 0x3f6eb680, v23
	v_add_f32_e32 v28, v36, v28
	v_mul_f32_e32 v36, 0x3f2c7751, v29
	v_mul_f32_e32 v107, 0xbf59a7d5, v23
	v_add_f32_e32 v30, v37, v30
	v_fma_f32 v37, v31, s11, -v36
	v_fmac_f32_e32 v36, 0x3f3d2fb0, v31
	v_mul_f32_e32 v29, 0xbf763a35, v29
	v_add_f32_e32 v27, v106, v27
	v_mul_f32_e32 v108, 0x3f3d2fb0, v23
	v_add_f32_e32 v32, v36, v32
	v_mov_b32_e32 v36, v29
	v_fma_f32 v29, v31, s2, -v29
	v_add_f32_e32 v18, v27, v18
	v_add_f32_e32 v27, v107, v33
	v_add_f32_e32 v10, v29, v10
	v_mul_f32_e32 v29, 0xbe3c28d5, v25
	v_add_f32_e32 v20, v27, v20
	v_add_f32_e32 v27, v108, v35
	v_fmac_f32_e32 v36, 0xbe8c1d8e, v31
	v_fma_f32 v31, v23, s7, -v29
	v_fmac_f32_e32 v29, 0xbf7ba420, v23
	v_add_f32_e32 v22, v27, v22
	v_mul_f32_e32 v27, 0xbf4c4adb, v25
	v_add_f32_e32 v14, v29, v14
	v_fma_f32 v29, v23, s3, -v27
	v_fmac_f32_e32 v27, 0xbf1a4643, v23
	v_add_f32_e32 v24, v27, v24
	v_mul_f32_e32 v27, 0x3f65296c, v25
	v_add_f32_e32 v26, v29, v26
	v_fma_f32 v29, v23, s10, -v27
	v_fmac_f32_e32 v27, 0x3ee437d1, v23
	v_add_f32_e32 v27, v27, v28
	v_add_f32_e32 v28, v29, v30
	v_mul_f32_e32 v29, 0xbf763a35, v25
	v_mul_f32_e32 v25, 0x3f7ee86f, v25
	v_add_f32_e32 v16, v31, v16
	v_mov_b32_e32 v31, v25
	v_add_f32_e32 v34, v40, v34
	v_add_f32_e32 v38, v39, v38
	v_fma_f32 v30, v23, s2, -v29
	v_fmac_f32_e32 v29, 0xbe8c1d8e, v23
	v_fmac_f32_e32 v31, 0x3dbcf732, v23
	v_fma_f32 v23, v23, s15, -v25
	v_add_f32_e32 v12, v42, v12
	v_add_f32_e32 v34, v37, v34
	;; [unrolled: 1-line block ×4, first 2 shown]
	v_lshl_add_u32 v23, v0, 6, v1
	v_add_f32_e32 v29, v29, v32
	v_add_f32_e32 v30, v30, v34
	v_add_f32_e32 v31, v31, v36
	ds_write2_b32 v23, v12, v14 offset1:1
	ds_write2_b32 v23, v18, v20 offset0:2 offset1:3
	ds_write2_b32 v23, v22, v24 offset0:4 offset1:5
	;; [unrolled: 1-line block ×7, first 2 shown]
	ds_write_b32 v23, v16 offset:64
.LBB0_15:
	s_or_b64 exec, exec, s[4:5]
	s_movk_i32 s2, 0xf1
	v_mul_lo_u16_sdwa v10, v0, s2 dst_sel:DWORD dst_unused:UNUSED_PAD src0_sel:BYTE_0 src1_sel:DWORD
	v_lshrrev_b16_e32 v22, 12, v10
	v_mul_lo_u16_e32 v10, 17, v22
	v_sub_u16_e32 v23, v0, v10
	v_mov_b32_e32 v10, 12
	v_mul_u32_u24_sdwa v10, v23, v10 dst_sel:DWORD dst_unused:UNUSED_PAD src0_sel:BYTE_0 src1_sel:DWORD
	v_lshlrev_b32_e32 v10, 3, v10
	s_waitcnt lgkmcnt(0)
	s_barrier
	global_load_dwordx4 v[38:41], v10, s[8:9]
	global_load_dwordx4 v[58:61], v10, s[8:9] offset:16
	global_load_dwordx4 v[62:65], v10, s[8:9] offset:32
	;; [unrolled: 1-line block ×5, first 2 shown]
	ds_read2_b32 v[24:25], v1 offset1:136
	ds_read2_b32 v[12:13], v13 offset0:16 offset1:152
	ds_read2_b32 v[14:15], v15 offset0:32 offset1:168
	;; [unrolled: 1-line block ×5, first 2 shown]
	ds_read_b32 v78, v1 offset:6528
	s_mov_b32 s6, 0x3df6dbef
	s_mov_b32 s10, 0x3f62ad3f
	;; [unrolled: 1-line block ×6, first 2 shown]
	v_mul_u32_u24_e32 v22, 0x374, v22
	s_waitcnt vmcnt(0) lgkmcnt(0)
	s_barrier
	s_movk_i32 s2, 0x55
	v_cmp_gt_u32_e64 s[2:3], s2, v0
	v_mul_f32_e32 v27, v25, v39
	v_mul_f32_e32 v55, v44, v39
	;; [unrolled: 1-line block ×16, first 2 shown]
	v_fma_f32 v56, v44, v38, -v27
	v_mul_f32_e32 v37, v45, v73
	v_mul_f32_e32 v57, v6, v77
	v_fma_f32 v42, v53, v40, -v30
	v_fmac_f32_e32 v39, v12, v40
	v_fma_f32 v40, v45, v72, -v67
	v_fma_f32 v45, v6, v76, -v71
	v_add_f32_e32 v6, v43, v56
	v_fmac_f32_e32 v55, v25, v38
	v_fma_f32 v38, v54, v58, -v31
	v_add_f32_e32 v6, v6, v42
	v_mul_f32_e32 v35, v15, v63
	v_fma_f32 v34, v51, v60, -v34
	v_add_f32_e32 v6, v6, v38
	v_fma_f32 v30, v52, v62, -v35
	v_add_f32_e32 v6, v6, v34
	v_fma_f32 v25, v49, v64, -v59
	v_add_f32_e32 v6, v6, v30
	v_mul_f32_e32 v28, v52, v63
	v_mul_f32_e32 v63, v18, v69
	v_fma_f32 v27, v50, v66, -v61
	v_add_f32_e32 v6, v6, v25
	v_fma_f32 v31, v47, v68, -v63
	v_add_f32_e32 v6, v6, v27
	v_fma_f32 v35, v48, v70, -v65
	v_fmac_f32_e32 v57, v78, v76
	v_add_f32_e32 v6, v6, v31
	v_mul_f32_e32 v29, v47, v69
	v_mul_f32_e32 v69, v21, v75
	v_fmac_f32_e32 v36, v13, v58
	v_sub_f32_e32 v13, v55, v57
	v_add_f32_e32 v6, v6, v35
	v_fmac_f32_e32 v10, v16, v64
	v_fma_f32 v44, v46, v74, -v69
	v_add_f32_e32 v12, v56, v45
	v_mul_f32_e32 v16, 0xbf7e222b, v13
	v_add_f32_e32 v6, v6, v40
	v_fmac_f32_e32 v33, v19, v70
	v_fma_f32 v19, v12, s6, -v16
	v_add_f32_e32 v6, v6, v44
	v_mul_f32_e32 v41, v46, v75
	v_fmac_f32_e32 v32, v14, v60
	v_fmac_f32_e32 v28, v15, v62
	v_fmac_f32_e32 v37, v20, v72
	v_mul_f32_e32 v14, 0xbeedf032, v13
	v_mul_f32_e32 v15, 0xbf52af12, v13
	v_add_f32_e32 v20, v6, v45
	v_add_f32_e32 v6, v43, v19
	v_mul_f32_e32 v19, 0xbf6f5d39, v13
	v_mul_f32_e32 v46, 0xbf29c268, v13
	;; [unrolled: 1-line block ×3, first 2 shown]
	v_fmac_f32_e32 v26, v17, v66
	v_fmac_f32_e32 v29, v18, v68
	;; [unrolled: 1-line block ×3, first 2 shown]
	v_fma_f32 v17, v12, s10, -v14
	v_fmac_f32_e32 v14, 0x3f62ad3f, v12
	v_fma_f32 v18, v12, s7, -v15
	v_fmac_f32_e32 v15, 0x3f116cb1, v12
	v_fmac_f32_e32 v16, 0x3df6dbef, v12
	v_fma_f32 v21, v12, s11, -v19
	v_fmac_f32_e32 v19, 0xbeb58ec6, v12
	v_fma_f32 v47, v12, s14, -v46
	;; [unrolled: 2-line block ×3, first 2 shown]
	v_fmac_f32_e32 v13, 0xbf788fa5, v12
	v_add_f32_e32 v17, v43, v17
	v_add_f32_e32 v14, v43, v14
	;; [unrolled: 1-line block ×11, first 2 shown]
	v_sub_f32_e32 v43, v39, v41
	v_add_f32_e32 v13, v42, v44
	v_mul_f32_e32 v49, 0xbf52af12, v43
	v_fma_f32 v50, v13, s7, -v49
	v_fmac_f32_e32 v49, 0x3f116cb1, v13
	v_add_f32_e32 v14, v49, v14
	v_mul_f32_e32 v49, 0xbf6f5d39, v43
	v_add_f32_e32 v17, v50, v17
	v_fma_f32 v50, v13, s11, -v49
	v_fmac_f32_e32 v49, 0xbeb58ec6, v13
	v_add_f32_e32 v15, v49, v15
	v_mul_f32_e32 v49, 0xbe750f2a, v43
	v_add_f32_e32 v18, v50, v18
	v_fma_f32 v50, v13, s15, -v49
	v_fmac_f32_e32 v49, 0xbf788fa5, v13
	v_add_f32_e32 v16, v49, v16
	v_mul_f32_e32 v49, 0x3f29c268, v43
	v_add_f32_e32 v6, v50, v6
	v_fma_f32 v50, v13, s14, -v49
	v_fmac_f32_e32 v49, 0xbf3f9e67, v13
	v_add_f32_e32 v19, v49, v19
	v_mul_f32_e32 v49, 0x3f7e222b, v43
	v_add_f32_e32 v21, v50, v21
	v_fma_f32 v50, v13, s6, -v49
	v_fmac_f32_e32 v49, 0x3df6dbef, v13
	v_mul_f32_e32 v43, 0x3eedf032, v43
	v_add_f32_e32 v46, v49, v46
	v_fma_f32 v49, v13, s10, -v43
	v_fmac_f32_e32 v43, 0x3f62ad3f, v13
	v_add_f32_e32 v12, v43, v12
	v_sub_f32_e32 v43, v36, v37
	v_add_f32_e32 v48, v49, v48
	v_add_f32_e32 v13, v38, v40
	v_mul_f32_e32 v49, 0xbf7e222b, v43
	v_add_f32_e32 v47, v50, v47
	v_fma_f32 v50, v13, s6, -v49
	v_fmac_f32_e32 v49, 0x3df6dbef, v13
	v_add_f32_e32 v14, v49, v14
	v_mul_f32_e32 v49, 0xbe750f2a, v43
	v_add_f32_e32 v17, v50, v17
	v_fma_f32 v50, v13, s15, -v49
	v_fmac_f32_e32 v49, 0xbf788fa5, v13
	v_add_f32_e32 v15, v49, v15
	v_mul_f32_e32 v49, 0x3f6f5d39, v43
	v_add_f32_e32 v18, v50, v18
	v_fma_f32 v50, v13, s11, -v49
	v_fmac_f32_e32 v49, 0xbeb58ec6, v13
	v_add_f32_e32 v16, v49, v16
	v_mul_f32_e32 v49, 0x3eedf032, v43
	v_add_f32_e32 v6, v50, v6
	v_fma_f32 v50, v13, s10, -v49
	v_fmac_f32_e32 v49, 0x3f62ad3f, v13
	v_add_f32_e32 v19, v49, v19
	v_mul_f32_e32 v49, 0xbf52af12, v43
	v_add_f32_e32 v21, v50, v21
	v_fma_f32 v50, v13, s7, -v49
	v_fmac_f32_e32 v49, 0x3f116cb1, v13
	v_mul_f32_e32 v43, 0xbf29c268, v43
	v_add_f32_e32 v46, v49, v46
	v_fma_f32 v49, v13, s14, -v43
	v_fmac_f32_e32 v43, 0xbf3f9e67, v13
	v_add_f32_e32 v12, v43, v12
	v_sub_f32_e32 v43, v32, v33
	v_add_f32_e32 v48, v49, v48
	v_add_f32_e32 v13, v34, v35
	v_mul_f32_e32 v49, 0xbf6f5d39, v43
	v_add_f32_e32 v47, v50, v47
	;; [unrolled: 32-line block ×3, first 2 shown]
	v_fma_f32 v50, v13, s14, -v49
	v_fmac_f32_e32 v49, 0xbf3f9e67, v13
	v_add_f32_e32 v14, v49, v14
	v_mul_f32_e32 v49, 0x3f7e222b, v43
	v_add_f32_e32 v17, v50, v17
	v_fma_f32 v50, v13, s6, -v49
	v_fmac_f32_e32 v49, 0x3df6dbef, v13
	v_add_f32_e32 v15, v49, v15
	v_mul_f32_e32 v49, 0xbf52af12, v43
	v_add_f32_e32 v18, v50, v18
	v_fma_f32 v50, v13, s7, -v49
	v_add_f32_e32 v50, v50, v6
	v_fmac_f32_e32 v49, 0x3f116cb1, v13
	v_mul_f32_e32 v6, 0x3e750f2a, v43
	v_add_f32_e32 v16, v49, v16
	v_fma_f32 v49, v13, s15, -v6
	v_fmac_f32_e32 v6, 0xbf788fa5, v13
	v_add_f32_e32 v19, v6, v19
	v_mul_f32_e32 v6, 0x3eedf032, v43
	v_add_f32_e32 v21, v49, v21
	v_fma_f32 v49, v13, s10, -v6
	v_fmac_f32_e32 v6, 0x3f62ad3f, v13
	v_add_f32_e32 v46, v6, v46
	v_mul_f32_e32 v6, 0xbf6f5d39, v43
	v_fma_f32 v43, v13, s11, -v6
	v_fmac_f32_e32 v6, 0xbeb58ec6, v13
	v_sub_f32_e32 v51, v10, v26
	v_add_f32_e32 v47, v49, v47
	v_add_f32_e32 v43, v43, v48
	;; [unrolled: 1-line block ×4, first 2 shown]
	v_mul_f32_e32 v6, 0xbe750f2a, v51
	v_fma_f32 v12, v49, s15, -v6
	v_add_f32_e32 v17, v12, v17
	v_mul_f32_e32 v12, 0x3eedf032, v51
	v_fma_f32 v13, v49, s10, -v12
	v_fmac_f32_e32 v12, 0x3f62ad3f, v49
	v_add_f32_e32 v15, v12, v15
	v_mul_f32_e32 v12, 0xbf29c268, v51
	v_fmac_f32_e32 v6, 0xbf788fa5, v49
	v_add_f32_e32 v18, v13, v18
	v_fma_f32 v13, v49, s14, -v12
	v_fmac_f32_e32 v12, 0xbf3f9e67, v49
	v_add_f32_e32 v6, v6, v14
	v_add_f32_e32 v14, v12, v16
	v_mul_f32_e32 v12, 0x3f52af12, v51
	v_add_f32_e32 v50, v13, v50
	v_fma_f32 v13, v49, s7, -v12
	v_fmac_f32_e32 v12, 0x3f116cb1, v49
	v_add_f32_e32 v16, v13, v21
	v_add_f32_e32 v13, v12, v19
	v_mul_f32_e32 v12, 0xbf6f5d39, v51
	v_fma_f32 v19, v49, s11, -v12
	v_fmac_f32_e32 v12, 0xbeb58ec6, v49
	v_mul_f32_e32 v21, 0x3f7e222b, v51
	v_add_f32_e32 v12, v12, v46
	v_fma_f32 v46, v49, s6, -v21
	v_add_f32_e32 v46, v46, v43
	v_mov_b32_e32 v43, 2
	v_lshlrev_b32_sdwa v23, v43, v23 dst_sel:DWORD dst_unused:UNUSED_PAD src0_sel:DWORD src1_sel:BYTE_0
	v_fmac_f32_e32 v21, 0x3df6dbef, v49
	v_add3_u32 v43, 0, v22, v23
	v_add_f32_e32 v19, v19, v47
	v_add_f32_e32 v21, v21, v48
	ds_write2_b32 v43, v20, v17 offset1:17
	ds_write2_b32 v43, v18, v50 offset0:34 offset1:51
	ds_write2_b32 v43, v16, v19 offset0:68 offset1:85
	;; [unrolled: 1-line block ×5, first 2 shown]
	ds_write_b32 v43, v6 offset:816
	v_add_u32_e32 v46, 0x680, v1
	v_add_u32_e32 v47, 0xd80, v1
	v_add_u32_e32 v48, 0x1480, v1
	s_waitcnt lgkmcnt(0)
	s_barrier
	ds_read2_b32 v[16:17], v1 offset1:221
	ds_read2_b32 v[20:21], v46 offset0:26 offset1:247
	ds_read2_b32 v[18:19], v47 offset0:20 offset1:241
	;; [unrolled: 1-line block ×3, first 2 shown]
	s_and_saveexec_b64 s[4:5], s[2:3]
	s_cbranch_execz .LBB0_17
; %bb.16:
	v_add_u32_e32 v4, 0x200, v1
	ds_read2_b32 v[12:13], v4 offset0:8 offset1:229
	v_add_u32_e32 v4, 0x900, v1
	ds_read2_b32 v[14:15], v4 offset0:2 offset1:223
	;; [unrolled: 2-line block ×4, first 2 shown]
.LBB0_17:
	s_or_b64 exec, exec, s[4:5]
	v_add_f32_e32 v49, v24, v55
	v_add_f32_e32 v49, v49, v39
	;; [unrolled: 1-line block ×11, first 2 shown]
	v_sub_f32_e32 v45, v56, v45
	v_add_f32_e32 v49, v49, v57
	v_add_f32_e32 v50, v55, v57
	v_mul_f32_e32 v51, 0xbeedf032, v45
	v_mul_f32_e32 v53, 0xbf52af12, v45
	;; [unrolled: 1-line block ×6, first 2 shown]
	v_mov_b32_e32 v52, v51
	v_mov_b32_e32 v54, v53
	;; [unrolled: 1-line block ×6, first 2 shown]
	v_add_f32_e32 v39, v39, v41
	v_sub_f32_e32 v41, v42, v44
	v_fmac_f32_e32 v52, 0x3f62ad3f, v50
	v_fma_f32 v51, v50, s10, -v51
	v_fmac_f32_e32 v54, 0x3f116cb1, v50
	v_fma_f32 v53, v50, s7, -v53
	;; [unrolled: 2-line block ×6, first 2 shown]
	v_mul_f32_e32 v42, 0xbf52af12, v41
	v_add_f32_e32 v52, v24, v52
	v_add_f32_e32 v51, v24, v51
	v_add_f32_e32 v54, v24, v54
	v_add_f32_e32 v53, v24, v53
	v_add_f32_e32 v56, v24, v56
	v_add_f32_e32 v55, v24, v55
	v_add_f32_e32 v58, v24, v58
	v_add_f32_e32 v57, v24, v57
	v_add_f32_e32 v60, v24, v60
	v_add_f32_e32 v59, v24, v59
	v_add_f32_e32 v61, v24, v61
	v_add_f32_e32 v24, v24, v45
	v_mov_b32_e32 v44, v42
	v_fma_f32 v42, v39, s7, -v42
	v_mul_f32_e32 v45, 0xbf6f5d39, v41
	v_fmac_f32_e32 v44, 0x3f116cb1, v39
	v_add_f32_e32 v42, v42, v51
	v_mov_b32_e32 v50, v45
	v_fma_f32 v45, v39, s11, -v45
	v_mul_f32_e32 v51, 0xbe750f2a, v41
	v_add_f32_e32 v44, v44, v52
	v_fmac_f32_e32 v50, 0xbeb58ec6, v39
	v_add_f32_e32 v45, v45, v53
	v_mov_b32_e32 v52, v51
	v_fma_f32 v51, v39, s15, -v51
	v_mul_f32_e32 v53, 0x3f29c268, v41
	v_add_f32_e32 v50, v50, v54
	v_fmac_f32_e32 v52, 0xbf788fa5, v39
	v_add_f32_e32 v51, v51, v55
	v_mov_b32_e32 v54, v53
	v_fma_f32 v53, v39, s14, -v53
	v_mul_f32_e32 v55, 0x3f7e222b, v41
	v_mul_f32_e32 v41, 0x3eedf032, v41
	v_add_f32_e32 v52, v52, v56
	v_add_f32_e32 v53, v53, v57
	v_mov_b32_e32 v56, v55
	v_mov_b32_e32 v57, v41
	v_add_f32_e32 v36, v36, v37
	v_sub_f32_e32 v37, v38, v40
	v_fmac_f32_e32 v54, 0xbf3f9e67, v39
	v_fmac_f32_e32 v56, 0x3df6dbef, v39
	v_fma_f32 v55, v39, s6, -v55
	v_fmac_f32_e32 v57, 0x3f62ad3f, v39
	v_fma_f32 v39, v39, s10, -v41
	v_mul_f32_e32 v38, 0xbf7e222b, v37
	v_add_f32_e32 v24, v39, v24
	v_mov_b32_e32 v39, v38
	v_fma_f32 v38, v36, s6, -v38
	v_mul_f32_e32 v40, 0xbe750f2a, v37
	v_fmac_f32_e32 v39, 0x3df6dbef, v36
	v_add_f32_e32 v38, v38, v42
	v_mov_b32_e32 v41, v40
	v_fma_f32 v40, v36, s15, -v40
	v_mul_f32_e32 v42, 0x3f6f5d39, v37
	v_add_f32_e32 v39, v39, v44
	v_fmac_f32_e32 v41, 0xbf788fa5, v36
	v_add_f32_e32 v40, v40, v45
	v_mov_b32_e32 v44, v42
	v_fma_f32 v42, v36, s11, -v42
	v_mul_f32_e32 v45, 0x3eedf032, v37
	v_add_f32_e32 v41, v41, v50
	v_fmac_f32_e32 v44, 0xbeb58ec6, v36
	v_add_f32_e32 v42, v42, v51
	v_mov_b32_e32 v50, v45
	v_fma_f32 v45, v36, s10, -v45
	v_mul_f32_e32 v51, 0xbf52af12, v37
	v_mul_f32_e32 v37, 0xbf29c268, v37
	v_add_f32_e32 v44, v44, v52
	v_add_f32_e32 v45, v45, v53
	v_mov_b32_e32 v52, v51
	v_mov_b32_e32 v53, v37
	v_add_f32_e32 v32, v32, v33
	v_sub_f32_e32 v33, v34, v35
	v_fmac_f32_e32 v50, 0x3f62ad3f, v36
	v_fmac_f32_e32 v52, 0x3f116cb1, v36
	v_fma_f32 v51, v36, s7, -v51
	v_fmac_f32_e32 v53, 0xbf3f9e67, v36
	v_fma_f32 v36, v36, s14, -v37
	v_mul_f32_e32 v34, 0xbf6f5d39, v33
	v_add_f32_e32 v24, v36, v24
	v_mov_b32_e32 v35, v34
	v_fma_f32 v34, v32, s11, -v34
	v_mul_f32_e32 v36, 0x3f29c268, v33
	v_fmac_f32_e32 v35, 0xbeb58ec6, v32
	v_add_f32_e32 v34, v34, v38
	v_mov_b32_e32 v37, v36
	v_fma_f32 v36, v32, s14, -v36
	v_mul_f32_e32 v38, 0x3eedf032, v33
	v_add_f32_e32 v35, v35, v39
	v_fmac_f32_e32 v37, 0xbf3f9e67, v32
	v_add_f32_e32 v36, v36, v40
	v_mov_b32_e32 v39, v38
	v_fma_f32 v38, v32, s10, -v38
	v_mul_f32_e32 v40, 0xbf7e222b, v33
	v_add_f32_e32 v37, v37, v41
	v_fmac_f32_e32 v39, 0x3f62ad3f, v32
	v_add_f32_e32 v38, v38, v42
	v_mov_b32_e32 v41, v40
	v_fma_f32 v40, v32, s6, -v40
	v_mul_f32_e32 v42, 0x3e750f2a, v33
	v_mul_f32_e32 v33, 0x3f52af12, v33
	v_add_f32_e32 v39, v39, v44
	v_add_f32_e32 v40, v40, v45
	v_mov_b32_e32 v44, v42
	v_mov_b32_e32 v45, v33
	v_fmac_f32_e32 v41, 0x3df6dbef, v32
	v_fmac_f32_e32 v44, 0xbf788fa5, v32
	v_fma_f32 v42, v32, s15, -v42
	v_fmac_f32_e32 v45, 0x3f116cb1, v32
	v_fma_f32 v32, v32, s7, -v33
	v_add_f32_e32 v28, v28, v29
	v_sub_f32_e32 v29, v30, v31
	v_add_f32_e32 v24, v32, v24
	v_mul_f32_e32 v30, 0xbf29c268, v29
	v_mul_f32_e32 v32, 0x3f7e222b, v29
	v_mov_b32_e32 v31, v30
	v_fma_f32 v30, v28, s14, -v30
	v_mov_b32_e32 v33, v32
	v_fma_f32 v32, v28, s6, -v32
	v_add_f32_e32 v54, v54, v58
	v_fmac_f32_e32 v31, 0xbf3f9e67, v28
	v_add_f32_e32 v30, v30, v34
	v_fmac_f32_e32 v33, 0x3df6dbef, v28
	v_add_f32_e32 v32, v32, v36
	v_mul_f32_e32 v34, 0xbf52af12, v29
	v_mul_f32_e32 v36, 0x3e750f2a, v29
	v_add_f32_e32 v50, v50, v54
	v_add_f32_e32 v31, v31, v35
	;; [unrolled: 1-line block ×3, first 2 shown]
	v_mov_b32_e32 v35, v34
	v_fma_f32 v34, v28, s7, -v34
	v_mov_b32_e32 v37, v36
	v_add_f32_e32 v41, v41, v50
	v_fmac_f32_e32 v35, 0x3f116cb1, v28
	v_add_f32_e32 v34, v34, v38
	v_fmac_f32_e32 v37, 0xbf788fa5, v28
	v_fma_f32 v36, v28, s15, -v36
	v_mul_f32_e32 v38, 0x3eedf032, v29
	v_mul_f32_e32 v29, 0xbf6f5d39, v29
	v_add_f32_e32 v35, v35, v39
	v_add_f32_e32 v37, v37, v41
	;; [unrolled: 1-line block ×3, first 2 shown]
	v_mov_b32_e32 v39, v38
	v_mov_b32_e32 v40, v29
	v_sub_f32_e32 v41, v25, v27
	v_fmac_f32_e32 v39, 0x3f62ad3f, v28
	v_fma_f32 v38, v28, s10, -v38
	v_fmac_f32_e32 v40, 0xbeb58ec6, v28
	v_fma_f32 v28, v28, s11, -v29
	v_add_f32_e32 v29, v10, v26
	v_mul_f32_e32 v10, 0xbe750f2a, v41
	v_add_f32_e32 v28, v28, v24
	v_mov_b32_e32 v24, v10
	v_fmac_f32_e32 v24, 0xbf788fa5, v29
	v_add_f32_e32 v31, v24, v31
	v_mul_f32_e32 v24, 0x3eedf032, v41
	v_mov_b32_e32 v25, v24
	v_fma_f32 v24, v29, s10, -v24
	v_fma_f32 v10, v29, s15, -v10
	v_fmac_f32_e32 v25, 0x3f62ad3f, v29
	v_add_f32_e32 v27, v24, v32
	v_mul_f32_e32 v24, 0xbf29c268, v41
	v_add_f32_e32 v10, v10, v30
	v_add_f32_e32 v30, v25, v33
	v_mov_b32_e32 v25, v24
	v_fma_f32 v24, v29, s14, -v24
	v_fmac_f32_e32 v25, 0xbf3f9e67, v29
	v_add_f32_e32 v26, v24, v34
	v_mul_f32_e32 v24, 0x3f52af12, v41
	v_add_f32_e32 v32, v25, v35
	v_mov_b32_e32 v25, v24
	v_add_f32_e32 v56, v56, v60
	v_fmac_f32_e32 v25, 0x3f116cb1, v29
	v_fma_f32 v24, v29, s7, -v24
	v_add_f32_e32 v55, v55, v59
	v_add_f32_e32 v57, v57, v61
	;; [unrolled: 1-line block ×5, first 2 shown]
	v_mul_f32_e32 v24, 0xbf6f5d39, v41
	v_mul_f32_e32 v35, 0x3f7e222b, v41
	v_add_f32_e32 v51, v51, v55
	v_add_f32_e32 v53, v53, v57
	;; [unrolled: 1-line block ×3, first 2 shown]
	v_mov_b32_e32 v34, v24
	v_mov_b32_e32 v36, v35
	v_add_f32_e32 v42, v42, v51
	v_add_f32_e32 v45, v45, v53
	;; [unrolled: 1-line block ×3, first 2 shown]
	v_fmac_f32_e32 v34, 0xbeb58ec6, v29
	v_fma_f32 v24, v29, s11, -v24
	v_fmac_f32_e32 v36, 0x3df6dbef, v29
	v_fma_f32 v29, v29, s6, -v35
	v_add_f32_e32 v38, v38, v42
	v_add_f32_e32 v40, v40, v45
	;; [unrolled: 1-line block ×6, first 2 shown]
	s_waitcnt lgkmcnt(0)
	s_barrier
	ds_write2_b32 v43, v49, v31 offset1:17
	ds_write2_b32 v43, v30, v32 offset0:34 offset1:51
	ds_write2_b32 v43, v33, v34 offset0:68 offset1:85
	;; [unrolled: 1-line block ×5, first 2 shown]
	ds_write_b32 v43, v10 offset:816
	s_waitcnt lgkmcnt(0)
	s_barrier
	ds_read2_b32 v[28:29], v1 offset1:221
	ds_read2_b32 v[30:31], v46 offset0:26 offset1:247
	ds_read2_b32 v[34:35], v47 offset0:20 offset1:241
	;; [unrolled: 1-line block ×3, first 2 shown]
	s_and_saveexec_b64 s[4:5], s[2:3]
	s_cbranch_execz .LBB0_19
; %bb.18:
	v_add_u32_e32 v8, 0x200, v1
	ds_read2_b32 v[24:25], v8 offset0:8 offset1:229
	v_add_u32_e32 v8, 0x900, v1
	ds_read2_b32 v[26:27], v8 offset0:2 offset1:223
	v_add_u32_e32 v8, 0xf80, v1
	v_add_u32_e32 v1, 0x1680, v1
	ds_read2_b32 v[10:11], v8 offset0:28 offset1:249
	ds_read2_b32 v[8:9], v1 offset0:22 offset1:243
.LBB0_19:
	s_or_b64 exec, exec, s[4:5]
	s_and_saveexec_b64 s[4:5], s[0:1]
	s_cbranch_execz .LBB0_22
; %bb.20:
	v_mul_u32_u24_e32 v1, 7, v0
	v_lshlrev_b32_e32 v1, 3, v1
	global_load_dwordx4 v[36:39], v1, s[8:9] offset:1632
	global_load_dwordx4 v[40:43], v1, s[8:9] offset:1664
	;; [unrolled: 1-line block ×3, first 2 shown]
	global_load_dwordx2 v[48:49], v1, s[8:9] offset:1680
	v_mov_b32_e32 v1, 0
	s_movk_i32 s0, 0x1000
	s_waitcnt vmcnt(3) lgkmcnt(2)
	v_mul_f32_e32 v50, v30, v39
	s_waitcnt vmcnt(2) lgkmcnt(0)
	v_mul_f32_e32 v51, v32, v43
	s_waitcnt vmcnt(1)
	v_mul_f32_e32 v52, v18, v47
	v_mul_f32_e32 v53, v29, v37
	;; [unrolled: 1-line block ×4, first 2 shown]
	s_waitcnt vmcnt(0)
	v_mul_f32_e32 v56, v23, v49
	v_mul_f32_e32 v45, v31, v45
	;; [unrolled: 1-line block ×8, first 2 shown]
	v_fma_f32 v20, v20, v38, -v50
	v_fma_f32 v22, v22, v42, -v51
	v_fmac_f32_e32 v52, v34, v46
	v_fma_f32 v17, v17, v36, -v53
	v_fma_f32 v19, v19, v40, -v54
	v_fmac_f32_e32 v55, v31, v44
	v_fmac_f32_e32 v56, v33, v48
	v_fma_f32 v21, v21, v44, -v45
	v_fma_f32 v23, v23, v48, -v49
	v_fmac_f32_e32 v37, v29, v36
	v_fmac_f32_e32 v41, v35, v40
	v_fma_f32 v18, v18, v46, -v47
	v_fmac_f32_e32 v39, v30, v38
	v_fmac_f32_e32 v43, v32, v42
	v_sub_f32_e32 v22, v20, v22
	v_sub_f32_e32 v29, v28, v52
	;; [unrolled: 1-line block ×8, first 2 shown]
	v_add_f32_e32 v33, v22, v29
	v_sub_f32_e32 v36, v32, v18
	v_fma_f32 v28, v28, 2.0, -v29
	v_fma_f32 v38, v39, 2.0, -v18
	;; [unrolled: 1-line block ×8, first 2 shown]
	v_sub_f32_e32 v34, v30, v19
	v_add_f32_e32 v35, v31, v23
	v_mov_b32_e32 v19, v33
	v_mov_b32_e32 v18, v36
	v_sub_f32_e32 v38, v28, v38
	v_sub_f32_e32 v39, v17, v21
	;; [unrolled: 1-line block ×4, first 2 shown]
	v_fma_f32 v43, v30, 2.0, -v34
	v_fma_f32 v45, v32, 2.0, -v36
	v_fmac_f32_e32 v19, 0x3f3504f3, v35
	v_fmac_f32_e32 v18, 0x3f3504f3, v34
	v_fma_f32 v32, v28, 2.0, -v38
	v_fma_f32 v28, v37, 2.0, -v41
	;; [unrolled: 1-line block ×5, first 2 shown]
	v_fmac_f32_e32 v19, 0x3f3504f3, v34
	v_fmac_f32_e32 v18, 0xbf3504f3, v35
	v_sub_f32_e32 v29, v32, v28
	v_sub_f32_e32 v28, v37, v30
	v_fma_f32 v44, v31, 2.0, -v35
	v_fma_f32 v31, v33, 2.0, -v19
	v_fma_f32 v30, v36, 2.0, -v18
	v_fma_f32 v33, v32, 2.0, -v29
	v_fma_f32 v32, v37, 2.0, -v28
	v_mov_b32_e32 v36, s13
	v_add_co_u32_e32 v37, vcc, s12, v2
	v_addc_co_u32_e32 v36, vcc, v36, v3, vcc
	v_lshlrev_b64 v[2:3], 3, v[0:1]
	v_mov_b32_e32 v23, v42
	v_mov_b32_e32 v22, v45
	v_sub_f32_e32 v20, v40, v41
	v_fmac_f32_e32 v23, 0xbf3504f3, v44
	v_fmac_f32_e32 v22, 0xbf3504f3, v43
	v_add_co_u32_e32 v2, vcc, v37, v2
	v_add_f32_e32 v21, v38, v39
	v_fma_f32 v16, v40, 2.0, -v20
	v_fmac_f32_e32 v23, 0x3f3504f3, v43
	v_fmac_f32_e32 v22, 0xbf3504f3, v44
	v_addc_co_u32_e32 v3, vcc, v36, v3, vcc
	v_fma_f32 v17, v38, 2.0, -v21
	v_fma_f32 v35, v42, 2.0, -v23
	;; [unrolled: 1-line block ×3, first 2 shown]
	global_store_dwordx2 v[2:3], v[32:33], off
	global_store_dwordx2 v[2:3], v[34:35], off offset:1768
	global_store_dwordx2 v[2:3], v[16:17], off offset:3536
	v_add_co_u32_e32 v16, vcc, s0, v2
	v_addc_co_u32_e32 v17, vcc, 0, v3, vcc
	global_store_dwordx2 v[16:17], v[30:31], off offset:1208
	global_store_dwordx2 v[16:17], v[28:29], off offset:2976
	v_add_co_u32_e32 v28, vcc, 0x2000, v2
	v_addc_co_u32_e32 v29, vcc, 0, v3, vcc
	;; [unrolled: 4-line block ×3, first 2 shown]
	global_store_dwordx2 v[20:21], v[18:19], off offset:88
	s_and_b64 exec, exec, s[2:3]
	s_cbranch_execz .LBB0_22
; %bb.21:
	v_mov_b32_e32 v18, 0xffffffab
	v_mov_b32_e32 v19, 0x88
	v_cndmask_b32_e64 v18, v18, v19, s[2:3]
	v_add_u32_e32 v0, v0, v18
	v_mul_i32_i24_e32 v0, 7, v0
	v_lshlrev_b64 v[0:1], 3, v[0:1]
	v_mov_b32_e32 v18, s9
	v_add_co_u32_e32 v0, vcc, s8, v0
	v_addc_co_u32_e32 v1, vcc, v18, v1, vcc
	global_load_dwordx4 v[18:21], v[0:1], off offset:1632
	global_load_dwordx4 v[28:31], v[0:1], off offset:1648
	;; [unrolled: 1-line block ×3, first 2 shown]
	global_load_dwordx2 v[22:23], v[0:1], off offset:1680
	s_waitcnt vmcnt(3)
	v_mul_f32_e32 v0, v25, v19
	v_mul_f32_e32 v1, v13, v19
	v_mul_f32_e32 v19, v26, v21
	v_mul_f32_e32 v21, v14, v21
	s_waitcnt vmcnt(2)
	v_mul_f32_e32 v36, v27, v29
	v_mul_f32_e32 v29, v15, v29
	v_mul_f32_e32 v37, v10, v31
	v_mul_f32_e32 v31, v6, v31
	;; [unrolled: 5-line block ×3, first 2 shown]
	s_waitcnt vmcnt(0)
	v_mul_f32_e32 v40, v9, v23
	v_mul_f32_e32 v23, v5, v23
	v_fma_f32 v0, v13, v18, -v0
	v_fmac_f32_e32 v1, v25, v18
	v_fma_f32 v13, v14, v20, -v19
	v_fmac_f32_e32 v21, v26, v20
	;; [unrolled: 2-line block ×7, first 2 shown]
	v_sub_f32_e32 v6, v12, v6
	v_sub_f32_e32 v8, v24, v31
	;; [unrolled: 1-line block ×8, first 2 shown]
	v_fma_f32 v12, v12, 2.0, -v6
	v_fma_f32 v15, v24, 2.0, -v8
	;; [unrolled: 1-line block ×8, first 2 shown]
	v_sub_f32_e32 v21, v6, v9
	v_add_f32_e32 v22, v8, v4
	v_sub_f32_e32 v23, v7, v11
	v_add_f32_e32 v14, v10, v5
	v_sub_f32_e32 v11, v12, v13
	v_sub_f32_e32 v13, v15, v18
	v_fma_f32 v18, v6, 2.0, -v21
	v_fma_f32 v24, v8, 2.0, -v22
	v_sub_f32_e32 v8, v19, v0
	v_sub_f32_e32 v6, v20, v1
	v_fma_f32 v25, v7, 2.0, -v23
	v_fma_f32 v26, v10, 2.0, -v14
	v_mov_b32_e32 v0, v21
	v_mov_b32_e32 v1, v22
	v_fma_f32 v12, v12, 2.0, -v11
	v_fma_f32 v15, v15, 2.0, -v13
	v_fma_f32 v9, v19, 2.0, -v8
	v_fma_f32 v10, v20, 2.0, -v6
	v_mov_b32_e32 v4, v18
	v_mov_b32_e32 v5, v24
	v_sub_f32_e32 v6, v11, v6
	v_add_f32_e32 v7, v13, v8
	v_fmac_f32_e32 v0, 0x3f3504f3, v23
	v_fmac_f32_e32 v1, 0x3f3504f3, v14
	v_sub_f32_e32 v8, v12, v9
	v_sub_f32_e32 v9, v15, v10
	v_fmac_f32_e32 v4, 0xbf3504f3, v25
	v_fmac_f32_e32 v5, 0xbf3504f3, v26
	v_fma_f32 v10, v11, 2.0, -v6
	v_fma_f32 v11, v13, 2.0, -v7
	v_fmac_f32_e32 v0, 0xbf3504f3, v14
	v_fma_f32 v12, v12, 2.0, -v8
	v_fma_f32 v13, v15, 2.0, -v9
	v_fmac_f32_e32 v4, 0xbf3504f3, v26
	v_fmac_f32_e32 v5, 0x3f3504f3, v25
	;; [unrolled: 1-line block ×3, first 2 shown]
	v_fma_f32 v14, v18, 2.0, -v4
	v_fma_f32 v15, v24, 2.0, -v5
	;; [unrolled: 1-line block ×4, first 2 shown]
	global_store_dwordx2 v[2:3], v[12:13], off offset:1088
	global_store_dwordx2 v[2:3], v[14:15], off offset:2856
	;; [unrolled: 1-line block ×5, first 2 shown]
	v_add_co_u32_e32 v8, vcc, 0x2000, v2
	v_addc_co_u32_e32 v9, vcc, 0, v3, vcc
	v_add_co_u32_e32 v2, vcc, 0x3000, v2
	v_addc_co_u32_e32 v3, vcc, 0, v3, vcc
	global_store_dwordx2 v[8:9], v[4:5], off offset:1736
	global_store_dwordx2 v[8:9], v[6:7], off offset:3504
	;; [unrolled: 1-line block ×3, first 2 shown]
.LBB0_22:
	s_endpgm
	.section	.rodata,"a",@progbits
	.p2align	6, 0x0
	.amdhsa_kernel fft_rtc_fwd_len1768_factors_17_13_8_wgs_136_tpt_136_halfLds_sp_ip_CI_unitstride_sbrr_dirReg
		.amdhsa_group_segment_fixed_size 0
		.amdhsa_private_segment_fixed_size 0
		.amdhsa_kernarg_size 88
		.amdhsa_user_sgpr_count 6
		.amdhsa_user_sgpr_private_segment_buffer 1
		.amdhsa_user_sgpr_dispatch_ptr 0
		.amdhsa_user_sgpr_queue_ptr 0
		.amdhsa_user_sgpr_kernarg_segment_ptr 1
		.amdhsa_user_sgpr_dispatch_id 0
		.amdhsa_user_sgpr_flat_scratch_init 0
		.amdhsa_user_sgpr_private_segment_size 0
		.amdhsa_uses_dynamic_stack 0
		.amdhsa_system_sgpr_private_segment_wavefront_offset 0
		.amdhsa_system_sgpr_workgroup_id_x 1
		.amdhsa_system_sgpr_workgroup_id_y 0
		.amdhsa_system_sgpr_workgroup_id_z 0
		.amdhsa_system_sgpr_workgroup_info 0
		.amdhsa_system_vgpr_workitem_id 0
		.amdhsa_next_free_vgpr 109
		.amdhsa_next_free_sgpr 22
		.amdhsa_reserve_vcc 1
		.amdhsa_reserve_flat_scratch 0
		.amdhsa_float_round_mode_32 0
		.amdhsa_float_round_mode_16_64 0
		.amdhsa_float_denorm_mode_32 3
		.amdhsa_float_denorm_mode_16_64 3
		.amdhsa_dx10_clamp 1
		.amdhsa_ieee_mode 1
		.amdhsa_fp16_overflow 0
		.amdhsa_exception_fp_ieee_invalid_op 0
		.amdhsa_exception_fp_denorm_src 0
		.amdhsa_exception_fp_ieee_div_zero 0
		.amdhsa_exception_fp_ieee_overflow 0
		.amdhsa_exception_fp_ieee_underflow 0
		.amdhsa_exception_fp_ieee_inexact 0
		.amdhsa_exception_int_div_zero 0
	.end_amdhsa_kernel
	.text
.Lfunc_end0:
	.size	fft_rtc_fwd_len1768_factors_17_13_8_wgs_136_tpt_136_halfLds_sp_ip_CI_unitstride_sbrr_dirReg, .Lfunc_end0-fft_rtc_fwd_len1768_factors_17_13_8_wgs_136_tpt_136_halfLds_sp_ip_CI_unitstride_sbrr_dirReg
                                        ; -- End function
	.section	.AMDGPU.csdata,"",@progbits
; Kernel info:
; codeLenInByte = 11548
; NumSgprs: 26
; NumVgprs: 109
; ScratchSize: 0
; MemoryBound: 0
; FloatMode: 240
; IeeeMode: 1
; LDSByteSize: 0 bytes/workgroup (compile time only)
; SGPRBlocks: 3
; VGPRBlocks: 27
; NumSGPRsForWavesPerEU: 26
; NumVGPRsForWavesPerEU: 109
; Occupancy: 2
; WaveLimiterHint : 1
; COMPUTE_PGM_RSRC2:SCRATCH_EN: 0
; COMPUTE_PGM_RSRC2:USER_SGPR: 6
; COMPUTE_PGM_RSRC2:TRAP_HANDLER: 0
; COMPUTE_PGM_RSRC2:TGID_X_EN: 1
; COMPUTE_PGM_RSRC2:TGID_Y_EN: 0
; COMPUTE_PGM_RSRC2:TGID_Z_EN: 0
; COMPUTE_PGM_RSRC2:TIDIG_COMP_CNT: 0
	.type	__hip_cuid_883f9fb2d2282a38,@object ; @__hip_cuid_883f9fb2d2282a38
	.section	.bss,"aw",@nobits
	.globl	__hip_cuid_883f9fb2d2282a38
__hip_cuid_883f9fb2d2282a38:
	.byte	0                               ; 0x0
	.size	__hip_cuid_883f9fb2d2282a38, 1

	.ident	"AMD clang version 19.0.0git (https://github.com/RadeonOpenCompute/llvm-project roc-6.4.0 25133 c7fe45cf4b819c5991fe208aaa96edf142730f1d)"
	.section	".note.GNU-stack","",@progbits
	.addrsig
	.addrsig_sym __hip_cuid_883f9fb2d2282a38
	.amdgpu_metadata
---
amdhsa.kernels:
  - .args:
      - .actual_access:  read_only
        .address_space:  global
        .offset:         0
        .size:           8
        .value_kind:     global_buffer
      - .offset:         8
        .size:           8
        .value_kind:     by_value
      - .actual_access:  read_only
        .address_space:  global
        .offset:         16
        .size:           8
        .value_kind:     global_buffer
      - .actual_access:  read_only
        .address_space:  global
        .offset:         24
        .size:           8
        .value_kind:     global_buffer
      - .offset:         32
        .size:           8
        .value_kind:     by_value
      - .actual_access:  read_only
        .address_space:  global
        .offset:         40
        .size:           8
        .value_kind:     global_buffer
      - .actual_access:  read_only
        .address_space:  global
        .offset:         48
        .size:           8
        .value_kind:     global_buffer
      - .offset:         56
        .size:           4
        .value_kind:     by_value
      - .actual_access:  read_only
        .address_space:  global
        .offset:         64
        .size:           8
        .value_kind:     global_buffer
      - .actual_access:  read_only
        .address_space:  global
        .offset:         72
        .size:           8
        .value_kind:     global_buffer
      - .address_space:  global
        .offset:         80
        .size:           8
        .value_kind:     global_buffer
    .group_segment_fixed_size: 0
    .kernarg_segment_align: 8
    .kernarg_segment_size: 88
    .language:       OpenCL C
    .language_version:
      - 2
      - 0
    .max_flat_workgroup_size: 136
    .name:           fft_rtc_fwd_len1768_factors_17_13_8_wgs_136_tpt_136_halfLds_sp_ip_CI_unitstride_sbrr_dirReg
    .private_segment_fixed_size: 0
    .sgpr_count:     26
    .sgpr_spill_count: 0
    .symbol:         fft_rtc_fwd_len1768_factors_17_13_8_wgs_136_tpt_136_halfLds_sp_ip_CI_unitstride_sbrr_dirReg.kd
    .uniform_work_group_size: 1
    .uses_dynamic_stack: false
    .vgpr_count:     109
    .vgpr_spill_count: 0
    .wavefront_size: 64
amdhsa.target:   amdgcn-amd-amdhsa--gfx906
amdhsa.version:
  - 1
  - 2
...

	.end_amdgpu_metadata
